;; amdgpu-corpus repo=ROCm/rocFFT kind=compiled arch=gfx1201 opt=O3
	.text
	.amdgcn_target "amdgcn-amd-amdhsa--gfx1201"
	.amdhsa_code_object_version 6
	.protected	fft_rtc_back_len968_factors_2_2_2_11_11_wgs_176_tpt_88_half_ip_CI_sbrr_dirReg ; -- Begin function fft_rtc_back_len968_factors_2_2_2_11_11_wgs_176_tpt_88_half_ip_CI_sbrr_dirReg
	.globl	fft_rtc_back_len968_factors_2_2_2_11_11_wgs_176_tpt_88_half_ip_CI_sbrr_dirReg
	.p2align	8
	.type	fft_rtc_back_len968_factors_2_2_2_11_11_wgs_176_tpt_88_half_ip_CI_sbrr_dirReg,@function
fft_rtc_back_len968_factors_2_2_2_11_11_wgs_176_tpt_88_half_ip_CI_sbrr_dirReg: ; @fft_rtc_back_len968_factors_2_2_2_11_11_wgs_176_tpt_88_half_ip_CI_sbrr_dirReg
; %bb.0:
	s_clause 0x2
	s_load_b64 s[12:13], s[0:1], 0x18
	s_load_b128 s[4:7], s[0:1], 0x0
	s_load_b64 s[10:11], s[0:1], 0x50
	v_mul_u32_u24_e32 v1, 0x2e9, v0
	v_mov_b32_e32 v3, 0
	s_delay_alu instid0(VALU_DEP_2) | instskip(SKIP_2) | instid1(VALU_DEP_4)
	v_lshrrev_b32_e32 v10, 16, v1
	v_mov_b32_e32 v1, 0
	v_mov_b32_e32 v2, 0
	;; [unrolled: 1-line block ×3, first 2 shown]
	s_delay_alu instid0(VALU_DEP_4) | instskip(SKIP_3) | instid1(VALU_DEP_1)
	v_lshl_add_u32 v5, ttmp9, 1, v10
	s_wait_kmcnt 0x0
	s_load_b64 s[8:9], s[12:13], 0x0
	v_cmp_lt_u64_e64 s2, s[6:7], 2
	s_and_b32 vcc_lo, exec_lo, s2
	s_cbranch_vccnz .LBB0_8
; %bb.1:
	s_load_b64 s[2:3], s[0:1], 0x10
	v_mov_b32_e32 v1, 0
	v_mov_b32_e32 v2, 0
	s_add_nc_u64 s[14:15], s[12:13], 8
	s_mov_b64 s[16:17], 1
	s_wait_kmcnt 0x0
	s_add_nc_u64 s[18:19], s[2:3], 8
	s_mov_b32 s3, 0
.LBB0_2:                                ; =>This Inner Loop Header: Depth=1
	s_load_b64 s[20:21], s[18:19], 0x0
                                        ; implicit-def: $vgpr7_vgpr8
	s_mov_b32 s2, exec_lo
	s_wait_kmcnt 0x0
	v_or_b32_e32 v4, s21, v6
	s_delay_alu instid0(VALU_DEP_1)
	v_cmpx_ne_u64_e32 0, v[3:4]
	s_wait_alu 0xfffe
	s_xor_b32 s22, exec_lo, s2
	s_cbranch_execz .LBB0_4
; %bb.3:                                ;   in Loop: Header=BB0_2 Depth=1
	s_cvt_f32_u32 s2, s20
	s_cvt_f32_u32 s23, s21
	s_sub_nc_u64 s[26:27], 0, s[20:21]
	s_wait_alu 0xfffe
	s_delay_alu instid0(SALU_CYCLE_1) | instskip(SKIP_1) | instid1(SALU_CYCLE_2)
	s_fmamk_f32 s2, s23, 0x4f800000, s2
	s_wait_alu 0xfffe
	v_s_rcp_f32 s2, s2
	s_delay_alu instid0(TRANS32_DEP_1) | instskip(SKIP_1) | instid1(SALU_CYCLE_2)
	s_mul_f32 s2, s2, 0x5f7ffffc
	s_wait_alu 0xfffe
	s_mul_f32 s23, s2, 0x2f800000
	s_wait_alu 0xfffe
	s_delay_alu instid0(SALU_CYCLE_2) | instskip(SKIP_1) | instid1(SALU_CYCLE_2)
	s_trunc_f32 s23, s23
	s_wait_alu 0xfffe
	s_fmamk_f32 s2, s23, 0xcf800000, s2
	s_cvt_u32_f32 s25, s23
	s_wait_alu 0xfffe
	s_delay_alu instid0(SALU_CYCLE_1) | instskip(SKIP_1) | instid1(SALU_CYCLE_2)
	s_cvt_u32_f32 s24, s2
	s_wait_alu 0xfffe
	s_mul_u64 s[28:29], s[26:27], s[24:25]
	s_wait_alu 0xfffe
	s_mul_hi_u32 s31, s24, s29
	s_mul_i32 s30, s24, s29
	s_mul_hi_u32 s2, s24, s28
	s_mul_i32 s33, s25, s28
	s_wait_alu 0xfffe
	s_add_nc_u64 s[30:31], s[2:3], s[30:31]
	s_mul_hi_u32 s23, s25, s28
	s_mul_hi_u32 s34, s25, s29
	s_add_co_u32 s2, s30, s33
	s_wait_alu 0xfffe
	s_add_co_ci_u32 s2, s31, s23
	s_mul_i32 s28, s25, s29
	s_add_co_ci_u32 s29, s34, 0
	s_wait_alu 0xfffe
	s_add_nc_u64 s[28:29], s[2:3], s[28:29]
	s_wait_alu 0xfffe
	v_add_co_u32 v4, s2, s24, s28
	s_delay_alu instid0(VALU_DEP_1) | instskip(SKIP_1) | instid1(VALU_DEP_1)
	s_cmp_lg_u32 s2, 0
	s_add_co_ci_u32 s25, s25, s29
	v_readfirstlane_b32 s24, v4
	s_wait_alu 0xfffe
	s_delay_alu instid0(VALU_DEP_1)
	s_mul_u64 s[26:27], s[26:27], s[24:25]
	s_wait_alu 0xfffe
	s_mul_hi_u32 s29, s24, s27
	s_mul_i32 s28, s24, s27
	s_mul_hi_u32 s2, s24, s26
	s_mul_i32 s30, s25, s26
	s_wait_alu 0xfffe
	s_add_nc_u64 s[28:29], s[2:3], s[28:29]
	s_mul_hi_u32 s23, s25, s26
	s_mul_hi_u32 s24, s25, s27
	s_wait_alu 0xfffe
	s_add_co_u32 s2, s28, s30
	s_add_co_ci_u32 s2, s29, s23
	s_mul_i32 s26, s25, s27
	s_add_co_ci_u32 s27, s24, 0
	s_wait_alu 0xfffe
	s_add_nc_u64 s[26:27], s[2:3], s[26:27]
	s_wait_alu 0xfffe
	v_add_co_u32 v4, s2, v4, s26
	s_delay_alu instid0(VALU_DEP_1) | instskip(SKIP_1) | instid1(VALU_DEP_1)
	s_cmp_lg_u32 s2, 0
	s_add_co_ci_u32 s2, s25, s27
	v_mul_hi_u32 v9, v5, v4
	s_wait_alu 0xfffe
	v_mad_co_u64_u32 v[7:8], null, v5, s2, 0
	v_mad_co_u64_u32 v[11:12], null, v6, v4, 0
	;; [unrolled: 1-line block ×3, first 2 shown]
	s_delay_alu instid0(VALU_DEP_3) | instskip(SKIP_1) | instid1(VALU_DEP_4)
	v_add_co_u32 v4, vcc_lo, v9, v7
	s_wait_alu 0xfffd
	v_add_co_ci_u32_e32 v7, vcc_lo, 0, v8, vcc_lo
	s_delay_alu instid0(VALU_DEP_2) | instskip(SKIP_1) | instid1(VALU_DEP_2)
	v_add_co_u32 v4, vcc_lo, v4, v11
	s_wait_alu 0xfffd
	v_add_co_ci_u32_e32 v4, vcc_lo, v7, v12, vcc_lo
	s_wait_alu 0xfffd
	v_add_co_ci_u32_e32 v7, vcc_lo, 0, v14, vcc_lo
	s_delay_alu instid0(VALU_DEP_2) | instskip(SKIP_1) | instid1(VALU_DEP_2)
	v_add_co_u32 v4, vcc_lo, v4, v13
	s_wait_alu 0xfffd
	v_add_co_ci_u32_e32 v9, vcc_lo, 0, v7, vcc_lo
	s_delay_alu instid0(VALU_DEP_2) | instskip(SKIP_1) | instid1(VALU_DEP_3)
	v_mul_lo_u32 v11, s21, v4
	v_mad_co_u64_u32 v[7:8], null, s20, v4, 0
	v_mul_lo_u32 v12, s20, v9
	s_delay_alu instid0(VALU_DEP_2) | instskip(NEXT) | instid1(VALU_DEP_2)
	v_sub_co_u32 v7, vcc_lo, v5, v7
	v_add3_u32 v8, v8, v12, v11
	s_delay_alu instid0(VALU_DEP_1) | instskip(SKIP_1) | instid1(VALU_DEP_1)
	v_sub_nc_u32_e32 v11, v6, v8
	s_wait_alu 0xfffd
	v_subrev_co_ci_u32_e64 v11, s2, s21, v11, vcc_lo
	v_add_co_u32 v12, s2, v4, 2
	s_wait_alu 0xf1ff
	v_add_co_ci_u32_e64 v13, s2, 0, v9, s2
	v_sub_co_u32 v14, s2, v7, s20
	v_sub_co_ci_u32_e32 v8, vcc_lo, v6, v8, vcc_lo
	s_wait_alu 0xf1ff
	v_subrev_co_ci_u32_e64 v11, s2, 0, v11, s2
	s_delay_alu instid0(VALU_DEP_3) | instskip(NEXT) | instid1(VALU_DEP_3)
	v_cmp_le_u32_e32 vcc_lo, s20, v14
	v_cmp_eq_u32_e64 s2, s21, v8
	s_wait_alu 0xfffd
	v_cndmask_b32_e64 v14, 0, -1, vcc_lo
	v_cmp_le_u32_e32 vcc_lo, s21, v11
	s_wait_alu 0xfffd
	v_cndmask_b32_e64 v15, 0, -1, vcc_lo
	v_cmp_le_u32_e32 vcc_lo, s20, v7
	;; [unrolled: 3-line block ×3, first 2 shown]
	s_wait_alu 0xfffd
	v_cndmask_b32_e64 v16, 0, -1, vcc_lo
	v_cmp_eq_u32_e32 vcc_lo, s21, v11
	s_wait_alu 0xf1ff
	s_delay_alu instid0(VALU_DEP_2)
	v_cndmask_b32_e64 v7, v16, v7, s2
	s_wait_alu 0xfffd
	v_cndmask_b32_e32 v11, v15, v14, vcc_lo
	v_add_co_u32 v14, vcc_lo, v4, 1
	s_wait_alu 0xfffd
	v_add_co_ci_u32_e32 v15, vcc_lo, 0, v9, vcc_lo
	s_delay_alu instid0(VALU_DEP_3) | instskip(SKIP_1) | instid1(VALU_DEP_2)
	v_cmp_ne_u32_e32 vcc_lo, 0, v11
	s_wait_alu 0xfffd
	v_dual_cndmask_b32 v8, v15, v13 :: v_dual_cndmask_b32 v11, v14, v12
	v_cmp_ne_u32_e32 vcc_lo, 0, v7
	s_wait_alu 0xfffd
	s_delay_alu instid0(VALU_DEP_2)
	v_dual_cndmask_b32 v8, v9, v8 :: v_dual_cndmask_b32 v7, v4, v11
.LBB0_4:                                ;   in Loop: Header=BB0_2 Depth=1
	s_wait_alu 0xfffe
	s_and_not1_saveexec_b32 s2, s22
	s_cbranch_execz .LBB0_6
; %bb.5:                                ;   in Loop: Header=BB0_2 Depth=1
	v_cvt_f32_u32_e32 v4, s20
	s_sub_co_i32 s22, 0, s20
	s_delay_alu instid0(VALU_DEP_1) | instskip(NEXT) | instid1(TRANS32_DEP_1)
	v_rcp_iflag_f32_e32 v4, v4
	v_mul_f32_e32 v4, 0x4f7ffffe, v4
	s_delay_alu instid0(VALU_DEP_1) | instskip(SKIP_1) | instid1(VALU_DEP_1)
	v_cvt_u32_f32_e32 v4, v4
	s_wait_alu 0xfffe
	v_mul_lo_u32 v7, s22, v4
	s_delay_alu instid0(VALU_DEP_1) | instskip(NEXT) | instid1(VALU_DEP_1)
	v_mul_hi_u32 v7, v4, v7
	v_add_nc_u32_e32 v4, v4, v7
	s_delay_alu instid0(VALU_DEP_1) | instskip(NEXT) | instid1(VALU_DEP_1)
	v_mul_hi_u32 v4, v5, v4
	v_mul_lo_u32 v7, v4, s20
	v_add_nc_u32_e32 v8, 1, v4
	s_delay_alu instid0(VALU_DEP_2) | instskip(NEXT) | instid1(VALU_DEP_1)
	v_sub_nc_u32_e32 v7, v5, v7
	v_subrev_nc_u32_e32 v9, s20, v7
	v_cmp_le_u32_e32 vcc_lo, s20, v7
	s_wait_alu 0xfffd
	s_delay_alu instid0(VALU_DEP_2) | instskip(NEXT) | instid1(VALU_DEP_1)
	v_dual_cndmask_b32 v7, v7, v9 :: v_dual_cndmask_b32 v4, v4, v8
	v_cmp_le_u32_e32 vcc_lo, s20, v7
	s_delay_alu instid0(VALU_DEP_2) | instskip(SKIP_1) | instid1(VALU_DEP_1)
	v_add_nc_u32_e32 v8, 1, v4
	s_wait_alu 0xfffd
	v_dual_cndmask_b32 v7, v4, v8 :: v_dual_mov_b32 v8, v3
.LBB0_6:                                ;   in Loop: Header=BB0_2 Depth=1
	s_wait_alu 0xfffe
	s_or_b32 exec_lo, exec_lo, s2
	s_load_b64 s[22:23], s[14:15], 0x0
	s_delay_alu instid0(VALU_DEP_1)
	v_mul_lo_u32 v4, v8, s20
	v_mul_lo_u32 v9, v7, s21
	v_mad_co_u64_u32 v[11:12], null, v7, s20, 0
	s_add_nc_u64 s[16:17], s[16:17], 1
	s_add_nc_u64 s[14:15], s[14:15], 8
	s_wait_alu 0xfffe
	v_cmp_ge_u64_e64 s2, s[16:17], s[6:7]
	s_add_nc_u64 s[18:19], s[18:19], 8
	s_delay_alu instid0(VALU_DEP_2) | instskip(NEXT) | instid1(VALU_DEP_3)
	v_add3_u32 v4, v12, v9, v4
	v_sub_co_u32 v5, vcc_lo, v5, v11
	s_wait_alu 0xfffd
	s_delay_alu instid0(VALU_DEP_2) | instskip(SKIP_3) | instid1(VALU_DEP_2)
	v_sub_co_ci_u32_e32 v4, vcc_lo, v6, v4, vcc_lo
	s_and_b32 vcc_lo, exec_lo, s2
	s_wait_kmcnt 0x0
	v_mul_lo_u32 v6, s23, v5
	v_mul_lo_u32 v4, s22, v4
	v_mad_co_u64_u32 v[1:2], null, s22, v5, v[1:2]
	s_delay_alu instid0(VALU_DEP_1)
	v_add3_u32 v2, v6, v2, v4
	s_wait_alu 0xfffe
	s_cbranch_vccnz .LBB0_9
; %bb.7:                                ;   in Loop: Header=BB0_2 Depth=1
	v_dual_mov_b32 v5, v7 :: v_dual_mov_b32 v6, v8
	s_branch .LBB0_2
.LBB0_8:
	v_dual_mov_b32 v8, v6 :: v_dual_mov_b32 v7, v5
.LBB0_9:
	s_lshl_b64 s[2:3], s[6:7], 3
	v_mul_hi_u32 v3, 0x2e8ba2f, v0
	s_wait_alu 0xfffe
	s_add_nc_u64 s[2:3], s[12:13], s[2:3]
	s_load_b64 s[0:1], s[0:1], 0x20
	s_load_b64 s[2:3], s[2:3], 0x0
	s_delay_alu instid0(VALU_DEP_1) | instskip(NEXT) | instid1(VALU_DEP_1)
	v_mul_u32_u24_e32 v3, 0x58, v3
	v_sub_nc_u32_e32 v13, v0, v3
	s_delay_alu instid0(VALU_DEP_1)
	v_add_nc_u32_e32 v4, 0x58, v13
	v_add_nc_u32_e32 v5, 0xb0, v13
	;; [unrolled: 1-line block ×3, first 2 shown]
	s_wait_kmcnt 0x0
	v_cmp_gt_u64_e32 vcc_lo, s[0:1], v[7:8]
	v_mul_lo_u32 v3, s2, v8
	v_mul_lo_u32 v9, s3, v7
	v_mad_co_u64_u32 v[0:1], null, s2, v7, v[1:2]
	v_cmp_le_u64_e64 s0, s[0:1], v[7:8]
	v_add_nc_u32_e32 v7, 0x160, v13
                                        ; implicit-def: $sgpr2
                                        ; implicit-def: $sgpr3
	s_delay_alu instid0(VALU_DEP_3) | instskip(NEXT) | instid1(VALU_DEP_3)
	v_add3_u32 v1, v9, v1, v3
	s_and_saveexec_b32 s1, s0
	s_wait_alu 0xfffe
	s_xor_b32 s0, exec_lo, s1
; %bb.10:
	v_add_nc_u32_e32 v4, 0x58, v13
	v_add_nc_u32_e32 v5, 0xb0, v13
	;; [unrolled: 1-line block ×4, first 2 shown]
	s_mov_b32 s3, 0
	s_mov_b32 s2, 0
; %bb.11:
	s_wait_alu 0xfffe
	s_or_saveexec_b32 s1, s0
	v_lshlrev_b64_e32 v[8:9], 2, v[0:1]
	v_mov_b32_e32 v12, s3
	v_mov_b32_e32 v20, s2
                                        ; implicit-def: $vgpr17
                                        ; implicit-def: $vgpr22
                                        ; implicit-def: $vgpr2
                                        ; implicit-def: $vgpr14
                                        ; implicit-def: $vgpr3
                                        ; implicit-def: $vgpr16
                                        ; implicit-def: $vgpr11
                                        ; implicit-def: $vgpr18
                                        ; implicit-def: $vgpr15
                                        ; implicit-def: $vgpr19
                                        ; implicit-def: $vgpr21
	s_wait_alu 0xfffe
	s_xor_b32 exec_lo, exec_lo, s1
	s_cbranch_execz .LBB0_15
; %bb.12:
	v_add_nc_u32_e32 v16, 0x1e4, v13
	v_mad_co_u64_u32 v[0:1], null, s8, v13, 0
	v_mad_co_u64_u32 v[11:12], null, s8, v4, 0
	s_delay_alu instid0(VALU_DEP_3)
	v_mad_co_u64_u32 v[2:3], null, s8, v16, 0
	v_add_nc_u32_e32 v22, 0x23c, v13
	v_mad_co_u64_u32 v[24:25], null, s8, v6, 0
	v_add_nc_u32_e32 v35, 0x344, v13
	s_mov_b32 s2, exec_lo
	v_add_nc_u32_e32 v30, 0x2ec, v13
	v_mad_co_u64_u32 v[14:15], null, s9, v13, v[1:2]
	v_mov_b32_e32 v1, v3
	v_mov_b32_e32 v3, v12
	s_delay_alu instid0(VALU_DEP_2) | instskip(SKIP_2) | instid1(VALU_DEP_4)
	v_mad_co_u64_u32 v[15:16], null, s9, v16, v[1:2]
	v_mad_co_u64_u32 v[16:17], null, s8, v22, 0
	v_mov_b32_e32 v1, v14
	v_mad_co_u64_u32 v[18:19], null, s9, v4, v[3:4]
	s_delay_alu instid0(VALU_DEP_3) | instskip(NEXT) | instid1(VALU_DEP_3)
	v_dual_mov_b32 v3, v15 :: v_dual_mov_b32 v14, v17
	v_lshlrev_b64_e32 v[19:20], 2, v[0:1]
	v_add_co_u32 v0, s0, s10, v8
	s_delay_alu instid0(VALU_DEP_4) | instskip(SKIP_2) | instid1(VALU_DEP_3)
	v_mov_b32_e32 v12, v18
	s_wait_alu 0xf1ff
	v_add_co_ci_u32_e64 v1, s0, s11, v9, s0
	v_add_co_u32 v18, s0, v0, v19
	v_mad_co_u64_u32 v[14:15], null, s9, v22, v[14:15]
	s_wait_alu 0xf1ff
	s_delay_alu instid0(VALU_DEP_3)
	v_add_co_ci_u32_e64 v19, s0, v1, v20, s0
	v_mad_co_u64_u32 v[20:21], null, s8, v5, 0
	v_add_nc_u32_e32 v26, 0x294, v13
	v_lshlrev_b64_e32 v[2:3], 2, v[2:3]
	v_mov_b32_e32 v17, v14
	v_lshlrev_b64_e32 v[11:12], 2, v[11:12]
	v_mov_b32_e32 v15, v21
	v_mad_co_u64_u32 v[22:23], null, s8, v26, 0
	v_add_co_u32 v2, s0, v0, v2
	s_delay_alu instid0(VALU_DEP_3)
	v_mad_co_u64_u32 v[14:15], null, s9, v5, v[15:16]
	v_lshlrev_b64_e32 v[16:17], 2, v[16:17]
	s_wait_alu 0xf1ff
	v_add_co_ci_u32_e64 v3, s0, v1, v3, s0
	v_mov_b32_e32 v15, v23
	v_add_co_u32 v11, s0, v0, v11
	v_mov_b32_e32 v21, v14
	s_wait_alu 0xf1ff
	v_add_co_ci_u32_e64 v12, s0, v1, v12, s0
	v_mad_co_u64_u32 v[14:15], null, s9, v26, v[15:16]
	v_add_co_u32 v28, s0, v0, v16
	v_mad_co_u64_u32 v[26:27], null, s8, v30, 0
	s_wait_alu 0xf1ff
	v_add_co_ci_u32_e64 v29, s0, v1, v17, s0
	v_lshlrev_b64_e32 v[16:17], 2, v[20:21]
	v_mov_b32_e32 v15, v25
	v_mov_b32_e32 v23, v14
	v_mad_co_u64_u32 v[20:21], null, s8, v7, 0
	s_delay_alu instid0(VALU_DEP_3) | instskip(SKIP_4) | instid1(VALU_DEP_3)
	v_mad_co_u64_u32 v[14:15], null, s9, v6, v[15:16]
	v_mov_b32_e32 v15, v27
	v_add_co_u32 v33, s0, v0, v16
	s_wait_alu 0xf1ff
	v_add_co_ci_u32_e64 v34, s0, v1, v17, s0
	v_mad_co_u64_u32 v[30:31], null, s9, v30, v[15:16]
	v_lshlrev_b64_e32 v[16:17], 2, v[22:23]
	v_mad_co_u64_u32 v[31:32], null, s8, v35, 0
	v_mov_b32_e32 v15, v21
	v_mov_b32_e32 v25, v14
	s_delay_alu instid0(VALU_DEP_4) | instskip(NEXT) | instid1(VALU_DEP_3)
	v_add_co_u32 v22, s0, v0, v16
	v_mad_co_u64_u32 v[14:15], null, s9, v7, v[15:16]
	s_wait_alu 0xf1ff
	v_add_co_ci_u32_e64 v23, s0, v1, v17, s0
	v_lshlrev_b64_e32 v[16:17], 2, v[24:25]
	v_mov_b32_e32 v15, v32
	v_mov_b32_e32 v27, v30
	;; [unrolled: 1-line block ×3, first 2 shown]
	s_delay_alu instid0(VALU_DEP_3) | instskip(NEXT) | instid1(VALU_DEP_3)
	v_mad_co_u64_u32 v[24:25], null, s9, v35, v[15:16]
	v_lshlrev_b64_e32 v[25:26], 2, v[26:27]
	v_add_co_u32 v35, s0, v0, v16
	s_delay_alu instid0(VALU_DEP_4)
	v_lshlrev_b64_e32 v[14:15], 2, v[20:21]
	v_mov_b32_e32 v20, 0
	s_wait_alu 0xf1ff
	v_add_co_ci_u32_e64 v36, s0, v1, v17, s0
	v_mov_b32_e32 v32, v24
	v_add_co_u32 v24, s0, v0, v25
	s_wait_alu 0xf1ff
	v_add_co_ci_u32_e64 v25, s0, v1, v26, s0
	s_delay_alu instid0(VALU_DEP_3) | instskip(SKIP_3) | instid1(VALU_DEP_3)
	v_lshlrev_b64_e32 v[16:17], 2, v[31:32]
	v_add_co_u32 v26, s0, v0, v14
	s_wait_alu 0xf1ff
	v_add_co_ci_u32_e64 v27, s0, v1, v15, s0
	v_add_co_u32 v30, s0, v0, v16
	s_wait_alu 0xf1ff
	v_add_co_ci_u32_e64 v31, s0, v1, v17, s0
	s_clause 0x9
	global_load_b32 v17, v[18:19], off
	global_load_b32 v21, v[2:3], off
	global_load_b32 v15, v[11:12], off
	global_load_b32 v19, v[28:29], off
	global_load_b32 v11, v[33:34], off
	global_load_b32 v18, v[22:23], off
	global_load_b32 v3, v[35:36], off
	global_load_b32 v16, v[24:25], off
	global_load_b32 v2, v[26:27], off
	global_load_b32 v14, v[30:31], off
                                        ; implicit-def: $vgpr22
	v_cmpx_gt_u32_e32 44, v13
	s_cbranch_execz .LBB0_14
; %bb.13:
	v_add_nc_u32_e32 v26, 0x1b8, v13
	s_delay_alu instid0(VALU_DEP_1) | instskip(NEXT) | instid1(VALU_DEP_1)
	v_mad_co_u64_u32 v[22:23], null, s8, v26, 0
	v_dual_mov_b32 v12, v23 :: v_dual_add_nc_u32 v27, 0x39c, v13
	s_delay_alu instid0(VALU_DEP_1) | instskip(NEXT) | instid1(VALU_DEP_1)
	v_mad_co_u64_u32 v[24:25], null, s8, v27, 0
	v_mov_b32_e32 v20, v25
	s_delay_alu instid0(VALU_DEP_3) | instskip(SKIP_1) | instid1(VALU_DEP_2)
	v_mad_co_u64_u32 v[25:26], null, s9, v26, v[12:13]
	s_wait_loadcnt 0x8
	v_mad_co_u64_u32 v[26:27], null, s9, v27, v[20:21]
	s_delay_alu instid0(VALU_DEP_2) | instskip(NEXT) | instid1(VALU_DEP_2)
	v_mov_b32_e32 v23, v25
	v_mov_b32_e32 v25, v26
	s_delay_alu instid0(VALU_DEP_2) | instskip(NEXT) | instid1(VALU_DEP_2)
	v_lshlrev_b64_e32 v[22:23], 2, v[22:23]
	v_lshlrev_b64_e32 v[24:25], 2, v[24:25]
	s_delay_alu instid0(VALU_DEP_2) | instskip(SKIP_1) | instid1(VALU_DEP_3)
	v_add_co_u32 v22, s0, v0, v22
	s_wait_alu 0xf1ff
	v_add_co_ci_u32_e64 v23, s0, v1, v23, s0
	s_delay_alu instid0(VALU_DEP_3)
	v_add_co_u32 v0, s0, v0, v24
	s_wait_alu 0xf1ff
	v_add_co_ci_u32_e64 v1, s0, v1, v25, s0
	s_clause 0x1
	global_load_b32 v20, v[22:23], off
	global_load_b32 v22, v[0:1], off
.LBB0_14:
	s_wait_alu 0xfffe
	s_or_b32 exec_lo, exec_lo, s2
	v_mov_b32_e32 v12, v13
.LBB0_15:
	s_or_b32 exec_lo, exec_lo, s1
	s_wait_loadcnt 0x8
	v_pk_add_f16 v21, v17, v21 neg_lo:[0,1] neg_hi:[0,1]
	v_and_b32_e32 v1, 1, v10
	s_wait_loadcnt 0x0
	v_pk_add_f16 v10, v20, v22 neg_lo:[0,1] neg_hi:[0,1]
	v_lshrrev_b32_e32 v22, 16, v17
	v_lshl_add_u32 v23, v13, 3, 0
	v_lshrrev_b32_e32 v24, 16, v21
	v_cmp_eq_u32_e64 s0, 1, v1
	v_fma_f16 v17, v17, 2.0, -v21
	v_lshl_add_u32 v0, v4, 3, 0
	v_lshl_add_u32 v1, v5, 3, 0
	v_fma_f16 v22, v22, 2.0, -v24
	s_wait_alu 0xf1ff
	v_cndmask_b32_e64 v25, 0, 0x3c8, s0
	v_pk_add_f16 v24, v15, v19 neg_lo:[0,1] neg_hi:[0,1]
	v_pk_add_f16 v18, v11, v18 neg_lo:[0,1] neg_hi:[0,1]
	;; [unrolled: 1-line block ×3, first 2 shown]
	v_lshlrev_b32_e32 v22, 16, v22
	v_lshlrev_b32_e32 v19, 2, v25
	v_and_b32_e32 v25, 0xffff, v17
	v_lshl_add_u32 v17, v6, 3, 0
	v_pk_add_f16 v14, v2, v14 neg_lo:[0,1] neg_hi:[0,1]
	v_cmp_gt_u32_e64 s0, 44, v13
	v_add_nc_u32_e32 v26, v23, v19
	v_or_b32_e32 v25, v22, v25
	v_pk_fma_f16 v22, v20, 2.0, v10 op_sel_hi:[1,0,1] neg_lo:[0,0,1] neg_hi:[0,0,1]
	v_pk_fma_f16 v20, v15, 2.0, v24 op_sel_hi:[1,0,1] neg_lo:[0,0,1] neg_hi:[0,0,1]
	v_lshl_add_u32 v15, v7, 3, 0
	v_add_nc_u32_e32 v27, v0, v19
	ds_store_2addr_b32 v26, v25, v21 offset1:1
	v_add_nc_u32_e32 v21, 0x1b8, v13
	v_add_nc_u32_e32 v28, v1, v19
	v_pk_fma_f16 v11, v11, 2.0, v18 op_sel_hi:[1,0,1] neg_lo:[0,0,1] neg_hi:[0,0,1]
	v_add_nc_u32_e32 v25, v17, v19
	v_pk_fma_f16 v3, v3, 2.0, v16 op_sel_hi:[1,0,1] neg_lo:[0,0,1] neg_hi:[0,0,1]
	;; [unrolled: 2-line block ×3, first 2 shown]
	ds_store_2addr_b32 v27, v20, v24 offset1:1
	ds_store_2addr_b32 v28, v11, v18 offset1:1
	;; [unrolled: 1-line block ×4, first 2 shown]
	s_and_saveexec_b32 s1, s0
	s_cbranch_execz .LBB0_17
; %bb.16:
	v_lshlrev_b32_e32 v2, 3, v21
	s_delay_alu instid0(VALU_DEP_1)
	v_add3_u32 v2, 0, v2, v19
	ds_store_2addr_b32 v2, v22, v10 offset1:1
.LBB0_17:
	s_wait_alu 0xfffe
	s_or_b32 exec_lo, exec_lo, s1
	v_lshlrev_b32_e32 v20, 2, v13
	v_lshlrev_b32_e32 v3, 2, v4
	;; [unrolled: 1-line block ×5, first 2 shown]
	v_sub_nc_u32_e32 v2, v23, v20
	v_add3_u32 v14, 0, v19, v20
	global_wb scope:SCOPE_SE
	s_wait_dscnt 0x0
	s_barrier_signal -1
	s_barrier_wait -1
	v_add_nc_u32_e32 v23, v2, v19
	v_sub_nc_u32_e32 v2, v0, v3
	v_sub_nc_u32_e32 v0, v1, v11
	;; [unrolled: 1-line block ×4, first 2 shown]
	v_add_nc_u32_e32 v1, 0x600, v23
	v_add_nc_u32_e32 v24, 0x800, v23
	;; [unrolled: 1-line block ×6, first 2 shown]
	global_inv scope:SCOPE_SE
	ds_load_b32 v25, v14
	ds_load_2addr_b32 v[0:1], v1 offset0:100 offset1:188
	ds_load_2addr_b32 v[2:3], v24 offset0:148 offset1:236
	ds_load_b32 v26, v15
	ds_load_b32 v27, v18
	;; [unrolled: 1-line block ×4, first 2 shown]
	ds_load_b32 v31, v23 offset:3344
	v_lshlrev_b32_e32 v11, 1, v13
	v_lshlrev_b32_e32 v4, 1, v4
	;; [unrolled: 1-line block ×5, first 2 shown]
	v_lshrrev_b32_e32 v24, 16, v10
	s_and_saveexec_b32 s1, s0
	s_cbranch_execz .LBB0_19
; %bb.18:
	ds_load_b32 v10, v23 offset:3696
	ds_load_b32 v22, v23 offset:1760
	s_wait_dscnt 0x1
	v_lshrrev_b32_e32 v24, 16, v10
.LBB0_19:
	s_wait_alu 0xfffe
	s_or_b32 exec_lo, exec_lo, s1
	v_and_b32_e32 v30, 1, v13
	s_wait_dscnt 0x6
	v_lshrrev_b32_e32 v33, 16, v0
	v_lshrrev_b32_e32 v34, 16, v25
	s_wait_dscnt 0x0
	v_lshrrev_b32_e32 v35, 16, v22
	v_lshlrev_b32_e32 v21, 1, v21
	v_lshlrev_b32_e32 v32, 2, v30
	v_and_or_b32 v36, 0xfc, v11, v30
	v_and_or_b32 v37, 0x1fc, v4, v30
	;; [unrolled: 1-line block ×4, first 2 shown]
	global_load_b32 v32, v32, s[4:5]
	v_and_or_b32 v40, 0x3fc, v7, v30
	v_lshlrev_b32_e32 v36, 2, v36
	v_lshlrev_b32_e32 v37, 2, v37
	;; [unrolled: 1-line block ×5, first 2 shown]
	v_add3_u32 v36, 0, v36, v19
	v_add3_u32 v37, 0, v37, v19
	;; [unrolled: 1-line block ×5, first 2 shown]
	global_wb scope:SCOPE_SE
	s_wait_loadcnt 0x0
	s_barrier_signal -1
	s_barrier_wait -1
	global_inv scope:SCOPE_SE
	v_lshrrev_b32_e32 v41, 16, v32
	v_pk_mul_f16 v42, v32, v31 op_sel:[0,1]
	v_pk_mul_f16 v43, v32, v1 op_sel:[0,1]
	;; [unrolled: 1-line block ×4, first 2 shown]
	v_mul_f16_e32 v46, v41, v33
	v_mul_f16_e32 v47, v41, v0
	v_pk_fma_f16 v48, v32, v31, v42 op_sel:[0,0,1] op_sel_hi:[1,1,0]
	v_pk_fma_f16 v31, v32, v31, v42 op_sel:[0,0,1] op_sel_hi:[1,0,0] neg_lo:[1,0,0] neg_hi:[1,0,0]
	v_mul_f16_e32 v42, v24, v41
	v_mul_f16_e32 v41, v10, v41
	v_fmac_f16_e32 v46, v32, v0
	v_fma_f16 v0, v32, v33, -v47
	v_pk_fma_f16 v49, v32, v1, v43 op_sel:[0,0,1] op_sel_hi:[1,1,0]
	v_pk_fma_f16 v1, v32, v1, v43 op_sel:[0,0,1] op_sel_hi:[1,0,0] neg_lo:[1,0,0] neg_hi:[1,0,0]
	v_pk_fma_f16 v43, v32, v2, v44 op_sel:[0,0,1] op_sel_hi:[1,1,0]
	v_pk_fma_f16 v2, v32, v2, v44 op_sel:[0,0,1] op_sel_hi:[1,0,0] neg_lo:[1,0,0] neg_hi:[1,0,0]
	;; [unrolled: 2-line block ×3, first 2 shown]
	v_fmac_f16_e32 v42, v10, v32
	v_fma_f16 v10, v24, v32, -v41
	v_sub_f16_e32 v0, v34, v0
	v_sub_f16_e32 v32, v25, v46
	v_bfi_b32 v1, 0xffff, v49, v1
	v_bfi_b32 v2, 0xffff, v43, v2
	;; [unrolled: 1-line block ×3, first 2 shown]
	v_fma_f16 v33, v34, 2.0, -v0
	v_fma_f16 v34, v25, 2.0, -v32
	v_bfi_b32 v31, 0xffff, v48, v31
	v_sub_f16_e32 v24, v22, v42
	v_sub_f16_e32 v25, v35, v10
	v_lshlrev_b32_e32 v33, 16, v33
	v_and_b32_e32 v34, 0xffff, v34
	v_pk_add_f16 v1, v28, v1 neg_lo:[0,1] neg_hi:[0,1]
	v_pk_add_f16 v2, v26, v2 neg_lo:[0,1] neg_hi:[0,1]
	;; [unrolled: 1-line block ×4, first 2 shown]
	v_fma_f16 v10, v22, 2.0, -v24
	v_pack_b32_f16 v0, v32, v0
	v_or_b32_e32 v32, v33, v34
	v_fma_f16 v22, v35, 2.0, -v25
	v_pk_fma_f16 v28, v28, 2.0, v1 op_sel_hi:[1,0,1] neg_lo:[0,0,1] neg_hi:[0,0,1]
	v_pk_fma_f16 v26, v26, 2.0, v2 op_sel_hi:[1,0,1] neg_lo:[0,0,1] neg_hi:[0,0,1]
	;; [unrolled: 1-line block ×4, first 2 shown]
	ds_store_2addr_b32 v36, v32, v0 offset1:2
	ds_store_2addr_b32 v37, v28, v1 offset1:2
	;; [unrolled: 1-line block ×5, first 2 shown]
	s_and_saveexec_b32 s1, s0
	s_cbranch_execz .LBB0_21
; %bb.20:
	v_and_or_b32 v0, 0x3fc, v21, v30
	v_perm_b32 v1, v22, v10, 0x5040100
	v_perm_b32 v2, v25, v24, 0x5040100
	s_delay_alu instid0(VALU_DEP_3) | instskip(NEXT) | instid1(VALU_DEP_1)
	v_lshlrev_b32_e32 v0, 2, v0
	v_add3_u32 v0, 0, v0, v19
	ds_store_2addr_b32 v0, v1, v2 offset1:2
.LBB0_21:
	s_wait_alu 0xfffe
	s_or_b32 exec_lo, exec_lo, s1
	v_add_nc_u32_e32 v0, 0x600, v23
	v_add_nc_u32_e32 v1, 0x800, v23
	global_wb scope:SCOPE_SE
	s_wait_dscnt 0x0
	s_barrier_signal -1
	s_barrier_wait -1
	global_inv scope:SCOPE_SE
	ds_load_b32 v30, v14
	ds_load_2addr_b32 v[2:3], v0 offset0:100 offset1:188
	ds_load_2addr_b32 v[0:1], v1 offset0:148 offset1:236
	ds_load_b32 v26, v15
	ds_load_b32 v27, v18
	;; [unrolled: 1-line block ×4, first 2 shown]
	ds_load_b32 v31, v23 offset:3344
	s_and_saveexec_b32 s1, s0
	s_cbranch_execz .LBB0_23
; %bb.22:
	ds_load_b32 v10, v23 offset:1760
	ds_load_b32 v24, v23 offset:3696
	s_wait_dscnt 0x1
	v_lshrrev_b32_e32 v22, 16, v10
	s_wait_dscnt 0x0
	v_lshrrev_b32_e32 v25, 16, v24
.LBB0_23:
	s_wait_alu 0xfffe
	s_or_b32 exec_lo, exec_lo, s1
	v_and_b32_e32 v23, 3, v13
	s_wait_dscnt 0x7
	v_lshrrev_b32_e32 v33, 16, v30
	s_delay_alu instid0(VALU_DEP_2)
	v_lshlrev_b32_e32 v32, 2, v23
	v_and_or_b32 v11, 0xf8, v11, v23
	v_and_or_b32 v4, 0x1f8, v4, v23
	;; [unrolled: 1-line block ×4, first 2 shown]
	global_load_b32 v32, v32, s[4:5] offset:8
	v_and_or_b32 v7, 0x3f8, v7, v23
	v_lshlrev_b32_e32 v11, 2, v11
	v_lshlrev_b32_e32 v4, 2, v4
	;; [unrolled: 1-line block ×5, first 2 shown]
	v_add3_u32 v11, 0, v11, v19
	v_add3_u32 v4, 0, v4, v19
	v_add3_u32 v5, 0, v5, v19
	v_add3_u32 v6, 0, v6, v19
	v_add3_u32 v7, 0, v7, v19
	global_wb scope:SCOPE_SE
	s_wait_loadcnt_dscnt 0x0
	s_barrier_signal -1
	s_barrier_wait -1
	global_inv scope:SCOPE_SE
	v_pk_mul_f16 v34, v32, v2 op_sel:[0,1]
	v_pk_mul_f16 v36, v32, v3 op_sel:[0,1]
	;; [unrolled: 1-line block ×3, first 2 shown]
	s_delay_alu instid0(VALU_DEP_3) | instskip(SKIP_2) | instid1(VALU_DEP_4)
	v_pk_fma_f16 v35, v32, v2, v34 op_sel:[0,0,1] op_sel_hi:[1,1,0]
	v_pk_fma_f16 v2, v32, v2, v34 op_sel:[0,0,1] op_sel_hi:[1,0,0] neg_lo:[1,0,0] neg_hi:[1,0,0]
	v_pk_mul_f16 v34, v32, v31 op_sel:[0,1]
	v_pk_fma_f16 v39, v32, v1, v37 op_sel:[0,0,1] op_sel_hi:[1,1,0]
	v_pk_fma_f16 v1, v32, v1, v37 op_sel:[0,0,1] op_sel_hi:[1,0,0] neg_lo:[1,0,0] neg_hi:[1,0,0]
	s_delay_alu instid0(VALU_DEP_4)
	v_bfi_b32 v2, 0xffff, v35, v2
	v_pk_mul_f16 v35, v32, v0 op_sel:[0,1]
	v_pk_fma_f16 v38, v32, v31, v34 op_sel:[0,0,1] op_sel_hi:[1,1,0]
	v_pk_fma_f16 v31, v32, v31, v34 op_sel:[0,0,1] op_sel_hi:[1,0,0] neg_lo:[1,0,0] neg_hi:[1,0,0]
	v_pk_fma_f16 v34, v32, v3, v36 op_sel:[0,0,1] op_sel_hi:[1,1,0]
	v_pk_add_f16 v2, v30, v2 neg_lo:[0,1] neg_hi:[0,1]
	v_pk_fma_f16 v3, v32, v3, v36 op_sel:[0,0,1] op_sel_hi:[1,0,0] neg_lo:[1,0,0] neg_hi:[1,0,0]
	v_pk_fma_f16 v36, v32, v0, v35 op_sel:[0,0,1] op_sel_hi:[1,1,0]
	v_pk_fma_f16 v0, v32, v0, v35 op_sel:[0,0,1] op_sel_hi:[1,0,0] neg_lo:[1,0,0] neg_hi:[1,0,0]
	v_bfi_b32 v1, 0xffff, v39, v1
	v_lshrrev_b32_e32 v35, 16, v2
	v_fma_f16 v30, v30, 2.0, -v2
	v_bfi_b32 v3, 0xffff, v34, v3
	v_bfi_b32 v0, 0xffff, v36, v0
	;; [unrolled: 1-line block ×3, first 2 shown]
	v_fma_f16 v33, v33, 2.0, -v35
	v_and_b32_e32 v30, 0xffff, v30
	v_pk_add_f16 v3, v29, v3 neg_lo:[0,1] neg_hi:[0,1]
	v_pk_add_f16 v0, v26, v0 neg_lo:[0,1] neg_hi:[0,1]
	;; [unrolled: 1-line block ×3, first 2 shown]
	v_lshlrev_b32_e32 v33, 16, v33
	v_pk_add_f16 v31, v28, v31 neg_lo:[0,1] neg_hi:[0,1]
	v_pk_fma_f16 v29, v29, 2.0, v3 op_sel_hi:[1,0,1] neg_lo:[0,0,1] neg_hi:[0,0,1]
	v_pk_fma_f16 v26, v26, 2.0, v0 op_sel_hi:[1,0,1] neg_lo:[0,0,1] neg_hi:[0,0,1]
	;; [unrolled: 1-line block ×3, first 2 shown]
	v_or_b32_e32 v30, v33, v30
	v_pk_fma_f16 v28, v28, 2.0, v31 op_sel_hi:[1,0,1] neg_lo:[0,0,1] neg_hi:[0,0,1]
	ds_store_2addr_b32 v11, v30, v2 offset1:4
	ds_store_2addr_b32 v4, v29, v3 offset1:4
	;; [unrolled: 1-line block ×5, first 2 shown]
	s_and_saveexec_b32 s1, s0
	s_cbranch_execz .LBB0_25
; %bb.24:
	v_lshrrev_b32_e32 v0, 16, v32
	v_and_or_b32 v2, 0x3f8, v21, v23
	s_delay_alu instid0(VALU_DEP_2) | instskip(SKIP_1) | instid1(VALU_DEP_3)
	v_mul_f16_e32 v1, v25, v0
	v_mul_f16_e32 v0, v24, v0
	v_lshlrev_b32_e32 v2, 2, v2
	s_delay_alu instid0(VALU_DEP_3) | instskip(NEXT) | instid1(VALU_DEP_3)
	v_fmac_f16_e32 v1, v24, v32
	v_fma_f16 v0, v25, v32, -v0
	s_delay_alu instid0(VALU_DEP_3) | instskip(NEXT) | instid1(VALU_DEP_3)
	v_add3_u32 v2, 0, v2, v19
	v_sub_f16_e32 v1, v10, v1
	s_delay_alu instid0(VALU_DEP_3) | instskip(NEXT) | instid1(VALU_DEP_2)
	v_sub_f16_e32 v0, v22, v0
	v_fma_f16 v3, v10, 2.0, -v1
	s_delay_alu instid0(VALU_DEP_2) | instskip(SKIP_1) | instid1(VALU_DEP_2)
	v_fma_f16 v4, v22, 2.0, -v0
	v_pack_b32_f16 v0, v1, v0
	v_pack_b32_f16 v3, v3, v4
	ds_store_2addr_b32 v2, v3, v0 offset1:4
.LBB0_25:
	s_wait_alu 0xfffe
	s_or_b32 exec_lo, exec_lo, s1
	v_and_b32_e32 v30, 7, v13
	global_wb scope:SCOPE_SE
	s_wait_dscnt 0x0
	s_barrier_signal -1
	s_barrier_wait -1
	global_inv scope:SCOPE_SE
	v_mul_u32_u24_e32 v0, 10, v30
	v_add3_u32 v31, 0, v20, v19
	v_lshrrev_b32_e32 v24, 3, v13
	s_delay_alu instid0(VALU_DEP_3) | instskip(NEXT) | instid1(VALU_DEP_3)
	v_lshlrev_b32_e32 v10, 2, v0
	v_add_nc_u32_e32 v20, 0x600, v31
	v_add_nc_u32_e32 v21, 0x800, v31
	;; [unrolled: 1-line block ×3, first 2 shown]
	v_mul_u32_u24_e32 v36, 0x58, v24
	s_clause 0x2
	global_load_b128 v[0:3], v10, s[4:5] offset:24
	global_load_b128 v[4:7], v10, s[4:5] offset:40
	global_load_b64 v[10:11], v10, s[4:5] offset:56
	ds_load_b32 v23, v14
	ds_load_b32 v32, v16
	;; [unrolled: 1-line block ×5, first 2 shown]
	ds_load_2addr_b32 v[24:25], v20 offset0:56 offset1:144
	ds_load_2addr_b32 v[26:27], v21 offset0:104 offset1:192
	;; [unrolled: 1-line block ×3, first 2 shown]
	ds_load_u16 v31, v31 offset:1762
	v_or_b32_e32 v30, v36, v30
	global_wb scope:SCOPE_SE
	s_wait_loadcnt_dscnt 0x0
	s_barrier_signal -1
	s_barrier_wait -1
	global_inv scope:SCOPE_SE
	v_lshlrev_b32_e32 v30, 2, v30
	s_delay_alu instid0(VALU_DEP_1)
	v_add3_u32 v19, 0, v30, v19
	v_lshrrev_b32_e32 v40, 16, v23
	v_lshrrev_b32_e32 v36, 16, v32
	;; [unrolled: 1-line block ×15, first 2 shown]
	v_mul_f16_e32 v55, v45, v36
	v_mul_f16_e32 v45, v45, v32
	v_lshrrev_b32_e32 v47, 16, v2
	v_mul_f16_e32 v56, v46, v37
	v_mul_f16_e32 v46, v46, v33
	;; [unrolled: 1-line block ×6, first 2 shown]
	v_fmac_f16_e32 v55, v0, v32
	v_fma_f16 v0, v0, v36, -v45
	v_lshrrev_b32_e32 v54, 16, v11
	v_lshrrev_b32_e32 v48, 16, v3
	v_mul_f16_e32 v57, v47, v38
	v_mul_f16_e32 v47, v47, v34
	;; [unrolled: 1-line block ×4, first 2 shown]
	v_fmac_f16_e32 v56, v1, v33
	v_fma_f16 v1, v1, v37, -v46
	v_fmac_f16_e32 v59, v4, v24
	v_fmac_f16_e32 v60, v25, v5
	;; [unrolled: 1-line block ×3, first 2 shown]
	v_fma_f16 v10, v43, v10, -v53
	v_add_f16_e32 v24, v55, v23
	v_add_f16_e32 v25, v0, v40
	v_lshrrev_b32_e32 v51, 16, v6
	v_lshrrev_b32_e32 v52, 16, v7
	v_mul_f16_e32 v64, v44, v54
	v_mul_f16_e32 v54, v29, v54
	;; [unrolled: 1-line block ×4, first 2 shown]
	v_fmac_f16_e32 v57, v2, v34
	v_fma_f16 v2, v2, v38, -v47
	v_fma_f16 v5, v30, v5, -v50
	v_add_f16_e32 v30, v1, v10
	v_sub_f16_e32 v32, v1, v10
	v_add_f16_e32 v24, v24, v56
	v_add_f16_e32 v1, v25, v1
	v_mul_f16_e32 v61, v41, v51
	v_mul_f16_e32 v51, v26, v51
	v_mul_f16_e32 v62, v42, v52
	v_mul_f16_e32 v52, v27, v52
	v_fmac_f16_e32 v64, v29, v11
	v_fma_f16 v11, v44, v11, -v54
	v_fmac_f16_e32 v58, v3, v35
	v_fma_f16 v3, v3, v39, -v48
	v_add_f16_e32 v24, v24, v57
	v_add_f16_e32 v1, v1, v2
	v_fma_f16 v4, v31, v4, -v49
	v_fmac_f16_e32 v61, v26, v6
	v_fma_f16 v6, v41, v6, -v51
	v_fmac_f16_e32 v62, v27, v7
	v_fma_f16 v7, v42, v7, -v52
	v_add_f16_e32 v27, v0, v11
	v_sub_f16_e32 v0, v0, v11
	v_add_f16_e32 v24, v24, v58
	v_add_f16_e32 v1, v1, v3
	;; [unrolled: 1-line block ×3, first 2 shown]
	v_sub_f16_e32 v28, v55, v64
	v_add_f16_e32 v34, v2, v7
	v_sub_f16_e32 v36, v2, v7
	v_sub_f16_e32 v37, v3, v6
	v_add_f16_e32 v39, v3, v6
	v_sub_f16_e32 v42, v4, v5
	v_add_f16_e32 v44, v4, v5
	v_mul_f16_e32 v25, 0xb853, v0
	v_mul_f16_e32 v46, 0x3abb, v27
	;; [unrolled: 1-line block ×10, first 2 shown]
	v_add_f16_e32 v24, v24, v59
	v_add_f16_e32 v1, v1, v4
	;; [unrolled: 1-line block ×3, first 2 shown]
	v_sub_f16_e32 v31, v56, v63
	v_add_f16_e32 v33, v57, v62
	v_sub_f16_e32 v35, v57, v62
	v_add_f16_e32 v38, v58, v61
	;; [unrolled: 2-line block ×3, first 2 shown]
	v_sub_f16_e32 v45, v59, v60
	v_mul_f16_e32 v53, 0xbb47, v32
	v_mul_f16_e32 v54, 0x36a6, v30
	;; [unrolled: 1-line block ×40, first 2 shown]
	v_fmamk_f16 v2, v26, 0x3abb, v25
	v_fmamk_f16 v57, v28, 0x3853, v46
	v_fma_f16 v25, v26, 0x3abb, -v25
	v_fmac_f16_e32 v46, 0xb853, v28
	v_fmamk_f16 v93, v26, 0x36a6, v47
	v_fmamk_f16 v94, v28, 0x3b47, v48
	v_fma_f16 v47, v26, 0x36a6, -v47
	v_fmac_f16_e32 v48, 0xbb47, v28
	;; [unrolled: 4-line block ×5, first 2 shown]
	v_add_f16_e32 v24, v24, v60
	v_add_f16_e32 v1, v1, v5
	v_fmamk_f16 v26, v29, 0x36a6, v53
	v_fmamk_f16 v28, v31, 0x3b47, v54
	v_fma_f16 v53, v29, 0x36a6, -v53
	v_fmac_f16_e32 v54, 0xbb47, v31
	v_fmamk_f16 v101, v29, 0xb93d, v55
	v_fmamk_f16 v102, v31, 0x3a0c, v56
	v_fma_f16 v55, v29, 0xb93d, -v55
	v_fmac_f16_e32 v56, 0xba0c, v31
	;; [unrolled: 4-line block ×9, first 2 shown]
	v_fmamk_f16 v115, v33, 0xb93d, v36
	v_fma_f16 v33, v33, 0xb93d, -v36
	v_fmamk_f16 v36, v35, 0x3a0c, v34
	v_fmac_f16_e32 v34, 0xba0c, v35
	v_fmamk_f16 v35, v38, 0xb93d, v77
	v_fma_f16 v77, v38, 0xb93d, -v77
	v_fmamk_f16 v116, v38, 0xb08e, v78
	v_fma_f16 v78, v38, 0xb08e, -v78
	;; [unrolled: 2-line block ×5, first 2 shown]
	v_fmamk_f16 v38, v41, 0x3a0c, v81
	v_fmac_f16_e32 v81, 0xba0c, v41
	v_fmamk_f16 v120, v41, 0xbbeb, v82
	v_fmac_f16_e32 v82, 0x3beb, v41
	;; [unrolled: 2-line block ×5, first 2 shown]
	v_fmamk_f16 v41, v43, 0xbbad, v85
	v_fma_f16 v85, v43, 0xbbad, -v85
	v_fmamk_f16 v124, v43, 0x3abb, v86
	v_fma_f16 v86, v43, 0x3abb, -v86
	;; [unrolled: 2-line block ×5, first 2 shown]
	v_fmamk_f16 v43, v45, 0x3482, v89
	v_fmac_f16_e32 v89, 0xb482, v45
	v_fma_f16 v128, 0xb853, v45, v90
	v_fmac_f16_e32 v90, 0x3853, v45
	v_fma_f16 v129, 0x3a0c, v45, v91
	v_fmac_f16_e32 v91, 0xba0c, v45
	v_fma_f16 v130, 0xbb47, v45, v92
	v_fmac_f16_e32 v92, 0x3b47, v45
	v_fma_f16 v131, 0x3beb, v45, v44
	v_fmac_f16_e32 v44, 0xbbeb, v45
	v_add_f16_e32 v2, v2, v23
	v_add_f16_e32 v3, v25, v23
	v_add_f16_e32 v25, v93, v23
	v_add_f16_e32 v45, v47, v23
	v_add_f16_e32 v47, v95, v23
	v_add_f16_e32 v49, v49, v23
	v_add_f16_e32 v58, v97, v23
	v_add_f16_e32 v51, v51, v23
	v_add_f16_e32 v93, v99, v23
	v_add_f16_e32 v0, v0, v23
	v_add_f16_e32 v23, v57, v40
	v_add_f16_e32 v46, v46, v40
	v_add_f16_e32 v57, v94, v40
	v_add_f16_e32 v48, v48, v40
	v_add_f16_e32 v94, v96, v40
	v_add_f16_e32 v50, v50, v40
	v_add_f16_e32 v95, v98, v40
	v_add_f16_e32 v52, v52, v40
	v_add_f16_e32 v96, v100, v40
	v_add_f16_e32 v27, v27, v40
	v_add_f16_e32 v24, v24, v61
	v_add_f16_e32 v1, v1, v6
	v_add_f16_e32 v2, v26, v2
	v_add_f16_e32 v4, v28, v23
	v_add_f16_e32 v3, v53, v3
	v_add_f16_e32 v23, v54, v46
	v_add_f16_e32 v25, v101, v25
	v_add_f16_e32 v26, v102, v57
	v_add_f16_e32 v28, v55, v45
	v_add_f16_e32 v40, v56, v48
	v_add_f16_e32 v45, v103, v47
	v_add_f16_e32 v46, v104, v94
	v_add_f16_e32 v47, v65, v49
	v_add_f16_e32 v48, v66, v50
	v_add_f16_e32 v49, v105, v58
	v_add_f16_e32 v50, v106, v95
	v_add_f16_e32 v51, v67, v51
	v_add_f16_e32 v52, v68, v52
	v_add_f16_e32 v53, v107, v93
	v_add_f16_e32 v54, v108, v96
	v_add_f16_e32 v0, v29, v0
	v_add_f16_e32 v27, v30, v27
	v_add_f16_e32 v24, v24, v62
	v_add_f16_e32 v1, v1, v7
	v_add_f16_e32 v2, v31, v2
	v_add_f16_e32 v4, v32, v4
	v_add_f16_e32 v5, v70, v23
	v_add_f16_e32 v23, v109, v25
	v_add_f16_e32 v25, v110, v26
	v_add_f16_e32 v26, v71, v28
	v_add_f16_e32 v28, v72, v40
	v_add_f16_e32 v29, v111, v45
	v_add_f16_e32 v30, v112, v46
	v_add_f16_e32 v31, v73, v47
	v_add_f16_e32 v32, v74, v48
	v_add_f16_e32 v40, v113, v49
	v_add_f16_e32 v45, v114, v50
	v_add_f16_e32 v46, v75, v51
	v_add_f16_e32 v47, v76, v52
	v_add_f16_e32 v48, v115, v53
	v_add_f16_e32 v36, v36, v54
	v_add_f16_e32 v0, v33, v0
	v_add_f16_e32 v27, v34, v27
	v_add_f16_e32 v3, v69, v3
	v_add_f16_e32 v24, v24, v63
	v_add_f16_e32 v1, v1, v10
	v_add_f16_e32 v2, v35, v2
	v_add_f16_e32 v4, v38, v4
	v_add_f16_e32 v6, v116, v23
	v_add_f16_e32 v23, v120, v25
	v_add_f16_e32 v25, v78, v26
	v_add_f16_e32 v26, v82, v28
	v_add_f16_e32 v28, v117, v29
	v_add_f16_e32 v29, v121, v30
	v_add_f16_e32 v30, v79, v31
	v_add_f16_e32 v31, v83, v32
	v_add_f16_e32 v32, v118, v40
	v_add_f16_e32 v33, v122, v45
	v_add_f16_e32 v34, v80, v46
	v_add_f16_e32 v35, v84, v47
	v_add_f16_e32 v38, v119, v48
	v_add_f16_e32 v36, v123, v36
	v_add_f16_e32 v0, v37, v0
	v_add_f16_e32 v27, v39, v27
	v_add_f16_e32 v3, v77, v3
	v_add_f16_e32 v5, v81, v5
	v_add_f16_e32 v1, v1, v11
	v_add_f16_e32 v10, v24, v64
	v_add_f16_e32 v2, v41, v2
	v_add_f16_e32 v4, v43, v4
	v_add_f16_e32 v6, v124, v6
	v_add_f16_e64 v7, v128, v23
	v_add_f16_e32 v23, v86, v25
	v_add_f16_e32 v25, v90, v26
	v_add_f16_e32 v26, v125, v28
	v_add_f16_e64 v28, v129, v29
	v_add_f16_e32 v29, v87, v30
	v_add_f16_e32 v30, v91, v31
	v_add_f16_e32 v31, v126, v32
	;; [unrolled: 4-line block ×4, first 2 shown]
	v_add_f16_e32 v5, v89, v5
	v_lshlrev_b32_e32 v1, 16, v1
	v_and_b32_e32 v10, 0xffff, v10
	v_pack_b32_f16 v2, v2, v4
	v_pack_b32_f16 v4, v6, v7
	;; [unrolled: 1-line block ×10, first 2 shown]
	v_or_b32_e32 v1, v1, v10
	ds_store_2addr_b32 v19, v4, v6 offset0:16 offset1:24
	ds_store_2addr_b32 v19, v7, v11 offset0:32 offset1:40
	;; [unrolled: 1-line block ×4, first 2 shown]
	ds_store_b32 v19, v3 offset:320
	ds_store_2addr_b32 v19, v1, v2 offset1:8
	global_wb scope:SCOPE_SE
	s_wait_dscnt 0x0
	s_barrier_signal -1
	s_barrier_wait -1
	global_inv scope:SCOPE_SE
	s_and_saveexec_b32 s0, vcc_lo
	s_cbranch_execz .LBB0_27
; %bb.26:
	v_mul_u32_u24_e32 v0, 10, v13
	v_add_nc_u32_e32 v33, 0x58, v12
	v_add_co_u32 v7, vcc_lo, s10, v8
	s_wait_alu 0xfffd
	v_add_co_ci_u32_e32 v8, vcc_lo, s11, v9, vcc_lo
	v_lshlrev_b32_e32 v6, 2, v0
	v_add_nc_u32_e32 v38, 0xb0, v12
	v_add_nc_u32_e32 v40, 0x160, v12
	s_clause 0x2
	global_load_b128 v[0:3], v6, s[4:5] offset:344
	global_load_b64 v[4:5], v6, s[4:5] offset:376
	global_load_b128 v[23:26], v6, s[4:5] offset:360
	ds_load_2addr_b32 v[10:11], v22 offset0:24 offset1:112
	ds_load_b32 v34, v18
	ds_load_b32 v35, v17
	ds_load_b32 v36, v15
	ds_load_b32 v37, v16
	ds_load_b32 v6, v14
	ds_load_2addr_b32 v[13:14], v21 offset0:104 offset1:192
	ds_load_2addr_b32 v[15:16], v20 offset0:56 offset1:144
	v_mad_co_u64_u32 v[17:18], null, s8, v12, 0
	v_mad_co_u64_u32 v[19:20], null, s8, v33, 0
	;; [unrolled: 1-line block ×4, first 2 shown]
	s_delay_alu instid0(VALU_DEP_3) | instskip(SKIP_1) | instid1(VALU_DEP_1)
	v_dual_mov_b32 v9, v18 :: v_dual_mov_b32 v18, v20
	s_wait_dscnt 0x7
	v_mad_co_u64_u32 v[31:32], null, s9, v12, v[9:10]
	s_delay_alu instid0(VALU_DEP_2)
	v_mad_co_u64_u32 v[32:33], null, s9, v33, v[18:19]
	v_mov_b32_e32 v9, v22
	s_wait_dscnt 0x3
	v_lshrrev_b32_e32 v22, 16, v37
	v_lshrrev_b32_e32 v33, 16, v11
	;; [unrolled: 1-line block ×4, first 2 shown]
	s_wait_dscnt 0x0
	v_lshrrev_b32_e32 v48, 16, v16
	v_dual_mov_b32 v20, v32 :: v_dual_add_nc_u32 v39, 0x108, v12
	v_mov_b32_e32 v18, v31
	v_lshrrev_b32_e32 v41, 16, v6
	v_lshrrev_b32_e32 v31, 16, v10
	;; [unrolled: 1-line block ×6, first 2 shown]
	v_mad_co_u64_u32 v[27:28], null, s8, v39, 0
	v_lshlrev_b64_e32 v[17:18], 2, v[17:18]
	s_delay_alu instid0(VALU_DEP_1) | instskip(SKIP_1) | instid1(VALU_DEP_2)
	v_add_co_u32 v17, vcc_lo, v7, v17
	s_wait_alu 0xfffd
	v_add_co_ci_u32_e32 v18, vcc_lo, v8, v18, vcc_lo
	s_wait_loadcnt 0x2
	v_lshrrev_b32_e32 v32, 16, v0
	s_wait_loadcnt 0x1
	v_lshrrev_b32_e32 v53, 16, v5
	v_lshrrev_b32_e32 v49, 16, v1
	;; [unrolled: 1-line block ×3, first 2 shown]
	s_wait_loadcnt 0x0
	v_lshrrev_b32_e32 v55, 16, v24
	v_mul_f16_e32 v58, v32, v22
	v_mul_f16_e32 v59, v53, v33
	;; [unrolled: 1-line block ×4, first 2 shown]
	v_lshrrev_b32_e32 v50, 16, v2
	v_lshrrev_b32_e32 v52, 16, v4
	;; [unrolled: 1-line block ×3, first 2 shown]
	v_mul_f16_e32 v60, v49, v42
	v_mul_f16_e32 v49, v49, v36
	;; [unrolled: 1-line block ×4, first 2 shown]
	v_fmac_f16_e32 v58, v0, v37
	v_fmac_f16_e32 v59, v5, v11
	v_fma_f16 v5, v5, v33, -v53
	v_fma_f16 v0, v0, v22, -v32
	v_lshrrev_b32_e32 v56, 16, v25
	v_mul_f16_e32 v61, v52, v31
	v_mul_f16_e32 v62, v50, v43
	;; [unrolled: 1-line block ×7, first 2 shown]
	v_fmac_f16_e32 v60, v1, v36
	v_fma_f16 v1, v1, v42, -v49
	v_fmac_f16_e32 v64, v3, v35
	v_fmac_f16_e32 v67, v24, v16
	v_add_f16_e32 v16, v0, v5
	v_sub_f16_e32 v35, v0, v5
	v_add_f16_e32 v0, v0, v41
	v_lshrrev_b32_e32 v54, 16, v23
	v_mul_f16_e32 v52, v10, v52
	v_mul_f16_e32 v65, v56, v46
	;; [unrolled: 1-line block ×3, first 2 shown]
	v_fmac_f16_e32 v61, v4, v10
	v_fma_f16 v10, v26, v44, -v57
	v_fma_f16 v11, v2, v43, -v50
	v_add_f16_e32 v98, v0, v1
	v_mul_f16_e32 v66, v54, v47
	v_mul_f16_e32 v54, v54, v15
	v_fmac_f16_e32 v65, v25, v13
	v_fma_f16 v13, v25, v46, -v56
	v_fma_f16 v3, v3, v45, -v51
	v_add_f16_e32 v25, v11, v10
	v_sub_f16_e32 v43, v11, v10
	v_add_f16_e32 v11, v98, v11
	v_fma_f16 v4, v4, v31, -v52
	v_fmac_f16_e32 v66, v23, v15
	v_fma_f16 v15, v23, v47, -v54
	v_add_f16_e32 v31, v3, v13
	v_sub_f16_e32 v45, v3, v13
	v_add_f16_e32 v3, v11, v3
	v_fmac_f16_e32 v63, v26, v14
	v_fma_f16 v14, v24, v48, -v55
	v_fmac_f16_e32 v62, v2, v34
	v_sub_f16_e32 v2, v58, v59
	v_add_f16_e32 v3, v3, v15
	v_add_f16_e32 v48, v58, v6
	;; [unrolled: 1-line block ×3, first 2 shown]
	v_sub_f16_e32 v37, v1, v4
	v_mul_f16_e32 v49, 0xb853, v2
	v_add_f16_e32 v3, v3, v14
	v_mul_f16_e32 v68, 0xbb47, v2
	v_mul_f16_e32 v78, 0xbbeb, v2
	;; [unrolled: 1-line block ×4, first 2 shown]
	v_add_f16_e32 v3, v13, v3
	v_add_f16_e32 v48, v48, v60
	v_sub_f16_e32 v22, v60, v61
	v_sub_f16_e32 v26, v64, v65
	v_fma_f16 v138, 0xbbad, v16, v2
	v_add_f16_e32 v3, v10, v3
	v_fma_f16 v140, v16, 0xbbad, -v2
	v_sub_f16_e32 v24, v62, v63
	v_sub_f16_e32 v32, v66, v67
	v_add_f16_e32 v34, v58, v59
	v_add_f16_e32 v3, v4, v3
	v_mul_f16_e32 v50, 0xbb47, v22
	v_mul_f16_e32 v52, 0xba0c, v26
	;; [unrolled: 1-line block ×4, first 2 shown]
	v_add_f16_e32 v3, v5, v3
	v_mul_f16_e32 v71, 0x3beb, v26
	v_mul_f16_e32 v73, 0xbb47, v35
	;; [unrolled: 1-line block ×4, first 2 shown]
	v_lshlrev_b32_e32 v3, 16, v3
	v_lshlrev_b64_e32 v[1:2], 2, v[19:20]
	v_add_f16_e32 v19, v48, v62
	v_mul_f16_e32 v83, 0xbbeb, v35
	v_mul_f16_e32 v89, 0x3beb, v22
	;; [unrolled: 1-line block ×4, first 2 shown]
	v_add_f16_e32 v11, v19, v64
	v_mul_f16_e32 v22, 0x3853, v22
	v_mul_f16_e32 v26, 0x3b47, v26
	;; [unrolled: 1-line block ×3, first 2 shown]
	v_add_f16_e32 v33, v15, v14
	v_add_f16_e32 v11, v11, v66
	;; [unrolled: 1-line block ×4, first 2 shown]
	v_mul_f16_e32 v51, 0xbbeb, v24
	v_mul_f16_e32 v53, 0xb482, v32
	;; [unrolled: 1-line block ×20, first 2 shown]
	v_fmamk_f16 v60, v16, 0x3abb, v49
	v_fmamk_f16 v99, v23, 0x36a6, v50
	;; [unrolled: 1-line block ×3, first 2 shown]
	v_fma_f16 v103, v34, 0x3abb, -v54
	v_fmamk_f16 v108, v16, 0x36a6, v68
	v_fmamk_f16 v109, v23, 0xb93d, v69
	;; [unrolled: 1-line block ×6, first 2 shown]
	v_fma_f16 v128, 0xb93d, v16, v88
	v_fma_f16 v129, 0xb08e, v23, v89
	;; [unrolled: 1-line block ×4, first 2 shown]
	v_fma_f16 v78, v16, 0xb08e, -v78
	v_fma_f16 v68, v16, 0x36a6, -v68
	;; [unrolled: 1-line block ×7, first 2 shown]
	v_fmamk_f16 v50, v31, 0x36a6, v26
	v_fma_f16 v26, v31, 0x36a6, -v26
	v_fma_f16 v91, v31, 0xbbad, -v91
	;; [unrolled: 1-line block ×6, first 2 shown]
	v_fmac_f16_e32 v35, 0xbbad, v34
	v_add_f16_e32 v11, v11, v67
	v_sub_f16_e32 v47, v15, v14
	v_add_f16_e32 v42, v62, v63
	v_mul_f16_e32 v56, 0xbbeb, v43
	v_mul_f16_e32 v75, 0x3482, v43
	;; [unrolled: 1-line block ×5, first 2 shown]
	v_fmamk_f16 v100, v25, 0xb08e, v51
	v_fmamk_f16 v102, v33, 0xbbad, v53
	v_fma_f16 v104, v36, 0x36a6, -v55
	v_fma_f16 v106, v44, 0xb93d, -v57
	v_fmamk_f16 v110, v25, 0xbbad, v70
	v_fmamk_f16 v112, v33, 0x3abb, v72
	v_fma_f16 v114, v36, 0xb93d, -v74
	v_fma_f16 v116, v44, 0xb08e, -v76
	;; [unrolled: 4-line block ×3, first 2 shown]
	v_fma_f16 v130, 0x3abb, v25, v90
	v_fma_f16 v132, 0x36a6, v33, v92
	v_fma_f16 v134, v36, 0xb08e, -v94
	v_fma_f16 v136, v44, 0xbbad, -v96
	;; [unrolled: 1-line block ×4, first 2 shown]
	v_fmamk_f16 v49, v25, 0xb93d, v24
	v_fma_f16 v24, v25, 0xb93d, -v24
	v_fma_f16 v90, v25, 0x3abb, -v90
	;; [unrolled: 1-line block ×5, first 2 shown]
	v_fmamk_f16 v51, v33, 0xb08e, v32
	v_fma_f16 v32, v33, 0xb08e, -v32
	v_fma_f16 v92, v33, 0x36a6, -v92
	;; [unrolled: 1-line block ×6, first 2 shown]
	v_fmac_f16_e32 v37, 0x3abb, v36
	v_fmac_f16_e32 v94, 0xb08e, v36
	;; [unrolled: 1-line block ×5, first 2 shown]
	v_fma_f16 v36, v44, 0x36a6, -v45
	v_fmac_f16_e32 v45, 0x36a6, v44
	v_fmac_f16_e32 v96, 0xbbad, v44
	;; [unrolled: 1-line block ×5, first 2 shown]
	v_mov_b32_e32 v0, v28
	v_add_f16_e32 v20, v60, v41
	v_add_f16_e32 v28, v103, v6
	;; [unrolled: 1-line block ×4, first 2 shown]
	v_add_f16_e64 v62, v128, v41
	v_add_f16_e32 v52, v52, v6
	v_add_f16_e64 v108, v140, v41
	v_add_f16_e32 v35, v35, v6
	v_add_f16_e32 v78, v78, v41
	;; [unrolled: 1-line block ×5, first 2 shown]
	v_mul_f16_e32 v58, 0xb482, v47
	v_mul_f16_e32 v77, 0x3853, v47
	;; [unrolled: 1-line block ×5, first 2 shown]
	v_fma_f16 v113, v34, 0x36a6, -v73
	v_fma_f16 v123, v34, 0xb08e, -v83
	;; [unrolled: 1-line block ×3, first 2 shown]
	v_fmac_f16_e32 v93, 0xb93d, v34
	v_fmac_f16_e32 v83, 0xb08e, v34
	;; [unrolled: 1-line block ×4, first 2 shown]
	v_fma_f16 v34, v42, 0xb93d, -v43
	v_fmac_f16_e32 v43, 0xb93d, v42
	v_add_f16_e32 v16, v16, v41
	v_add_f16_e32 v19, v20, v99
	;; [unrolled: 1-line block ×5, first 2 shown]
	v_add_f16_e64 v48, v62, v129
	v_add_f16_e32 v52, v52, v53
	v_add_f16_e32 v22, v108, v22
	;; [unrolled: 1-line block ×6, first 2 shown]
	v_fma_f16 v105, v42, 0xb08e, -v56
	v_fma_f16 v107, v46, 0xbbad, -v58
	;; [unrolled: 1-line block ×8, first 2 shown]
	v_fmac_f16_e32 v95, 0x3abb, v42
	v_fmac_f16_e32 v85, 0x36a6, v42
	;; [unrolled: 1-line block ×4, first 2 shown]
	v_fma_f16 v42, v46, 0xb08e, -v47
	v_fmac_f16_e32 v47, 0xb08e, v46
	v_fmac_f16_e32 v97, 0x36a6, v46
	;; [unrolled: 1-line block ×5, first 2 shown]
	v_add_f16_e32 v46, v113, v6
	v_add_f16_e32 v60, v123, v6
	v_add_f16_e64 v98, v133, v6
	v_add_f16_e32 v93, v93, v6
	v_add_f16_e32 v83, v83, v6
	;; [unrolled: 1-line block ×22, first 2 shown]
	v_and_b32_e32 v4, 0xffff, v4
	v_add_f16_e64 v103, v138, v41
	v_add_f16_e32 v88, v88, v41
	v_add_f16_e32 v41, v46, v114
	v_add_f16_e32 v6, v6, v57
	v_add_f16_e32 v31, v14, v102
	v_add_f16_e32 v14, v16, v33
	v_or_b32_e32 v16, v3, v4
	v_mad_co_u64_u32 v[3:4], null, s9, v38, v[9:10]
	v_add_f16_e32 v46, v60, v124
	v_add_f16_e64 v60, v103, v139
	v_add_f16_e32 v19, v20, v105
	v_add_f16_e32 v20, v28, v110
	;; [unrolled: 1-line block ×4, first 2 shown]
	v_add_f16_e64 v44, v48, v130
	v_add_f16_e32 v22, v22, v26
	v_add_f16_e32 v6, v6, v58
	v_mad_co_u64_u32 v[4:5], null, s9, v39, v[0:1]
	v_add_f16_e32 v48, v60, v49
	v_add_f16_e32 v15, v19, v106
	;; [unrolled: 1-line block ×5, first 2 shown]
	v_add_f16_e64 v28, v44, v131
	v_add_co_u32 v0, vcc_lo, v7, v1
	v_add_f16_e32 v37, v88, v89
	v_add_f16_e32 v53, v93, v94
	;; [unrolled: 1-line block ×4, first 2 shown]
	s_wait_alu 0xfffd
	v_add_co_ci_u32_e32 v1, vcc_lo, v8, v2, vcc_lo
	v_pack_b32_f16 v5, v6, v14
	v_mov_b32_e32 v22, v3
	v_mov_b32_e32 v2, v30
	v_add_nc_u32_e32 v14, 0x1b8, v12
	v_add_f16_e32 v44, v48, v50
	v_add_f16_e64 v48, v28, v132
	v_mov_b32_e32 v28, v4
	v_add_f16_e32 v35, v37, v90
	v_add_f16_e32 v37, v53, v95
	;; [unrolled: 1-line block ×3, first 2 shown]
	s_clause 0x1
	global_store_b32 v[17:18], v16, off
	global_store_b32 v[0:1], v5, off
	v_lshlrev_b64_e32 v[0:1], 2, v[21:22]
	v_mad_co_u64_u32 v[5:6], null, s8, v14, 0
	v_add_nc_u32_e32 v17, 0x2c0, v12
	v_mad_co_u64_u32 v[2:3], null, s9, v40, v[2:3]
	v_add_f16_e32 v64, v83, v84
	v_lshlrev_b64_e32 v[3:4], 2, v[27:28]
	v_add_f16_e32 v24, v24, v45
	v_add_f16_e32 v45, v53, v76
	v_add_co_u32 v0, vcc_lo, v7, v0
	v_add_f16_e64 v54, v98, v134
	v_add_f16_e32 v49, v64, v85
	s_wait_alu 0xfffd
	v_add_co_ci_u32_e32 v1, vcc_lo, v8, v1, vcc_lo
	v_add_f16_e32 v13, v45, v77
	v_mov_b32_e32 v30, v2
	v_mov_b32_e32 v2, v6
	v_add_co_u32 v3, vcc_lo, v7, v3
	v_add_f16_e32 v41, v46, v125
	v_add_f16_e64 v46, v54, v135
	v_add_f16_e32 v26, v35, v91
	v_add_f16_e32 v35, v37, v96
	;; [unrolled: 1-line block ×3, first 2 shown]
	v_pack_b32_f16 v16, v13, v10
	v_mad_co_u64_u32 v[13:14], null, s9, v14, v[2:3]
	v_add_f16_e32 v25, v41, v126
	v_add_f16_e64 v41, v46, v136
	v_add_f16_e32 v46, v15, v107
	v_add_f16_e32 v15, v24, v47
	;; [unrolled: 1-line block ×6, first 2 shown]
	v_lshlrev_b64_e32 v[9:10], 2, v[29:30]
	s_wait_alu 0xfffd
	v_add_co_ci_u32_e32 v4, vcc_lo, v8, v4, vcc_lo
	global_store_b32 v[0:1], v16, off
	v_pack_b32_f16 v2, v35, v32
	v_dual_mov_b32 v6, v13 :: v_dual_add_nc_u32 v13, 0x210, v12
	v_add_nc_u32_e32 v16, 0x268, v12
	v_add_co_u32 v9, vcc_lo, v7, v9
	s_wait_alu 0xfffd
	v_add_co_ci_u32_e32 v10, vcc_lo, v8, v10, vcc_lo
	v_pack_b32_f16 v14, v26, v24
	global_store_b32 v[3:4], v2, off
	v_lshlrev_b64_e32 v[0:1], 2, v[5:6]
	v_mad_co_u64_u32 v[2:3], null, s8, v13, 0
	v_mad_co_u64_u32 v[4:5], null, s8, v16, 0
	global_store_b32 v[9:10], v14, off
	v_mad_co_u64_u32 v[9:10], null, s8, v17, 0
	v_add_nc_u32_e32 v21, 0x318, v12
	v_pack_b32_f16 v18, v15, v11
	v_add_co_u32 v0, vcc_lo, v7, v0
	v_mad_co_u64_u32 v[13:14], null, s9, v13, v[3:4]
	v_mad_co_u64_u32 v[5:6], null, s9, v16, v[5:6]
	v_mov_b32_e32 v6, v10
	v_mad_co_u64_u32 v[14:15], null, s8, v21, 0
	s_wait_alu 0xfffd
	v_add_co_ci_u32_e32 v1, vcc_lo, v8, v1, vcc_lo
	v_mov_b32_e32 v3, v13
	v_mad_co_u64_u32 v[10:11], null, s9, v17, v[6:7]
	v_add_nc_u32_e32 v6, 0x370, v12
	global_store_b32 v[0:1], v18, off
	v_lshlrev_b64_e32 v[0:1], 2, v[2:3]
	v_mov_b32_e32 v2, v15
	v_lshlrev_b64_e32 v[4:5], 2, v[4:5]
	v_mad_co_u64_u32 v[11:12], null, s8, v6, 0
	v_lshlrev_b64_e32 v[9:10], 2, v[9:10]
	s_delay_alu instid0(VALU_DEP_4)
	v_mad_co_u64_u32 v[2:3], null, s9, v21, v[2:3]
	v_add_co_u32 v0, vcc_lo, v7, v0
	s_wait_alu 0xfffd
	v_add_co_ci_u32_e32 v1, vcc_lo, v8, v1, vcc_lo
	v_mov_b32_e32 v3, v12
	v_add_f16_e32 v44, v44, v51
	v_mov_b32_e32 v15, v2
	v_add_co_u32 v2, vcc_lo, v7, v4
	s_delay_alu instid0(VALU_DEP_4)
	v_mad_co_u64_u32 v[12:13], null, s9, v6, v[3:4]
	s_wait_alu 0xfffd
	v_add_co_ci_u32_e32 v3, vcc_lo, v8, v5, vcc_lo
	v_lshlrev_b64_e32 v[4:5], 2, v[14:15]
	v_add_f16_e32 v34, v34, v42
	v_add_f16_e64 v41, v41, v137
	v_add_co_u32 v9, vcc_lo, v7, v9
	v_lshlrev_b64_e32 v[11:12], 2, v[11:12]
	v_add_f16_e32 v23, v23, v122
	v_add_f16_e32 v25, v25, v127
	;; [unrolled: 1-line block ×4, first 2 shown]
	s_wait_alu 0xfffd
	v_add_co_ci_u32_e32 v10, vcc_lo, v8, v10, vcc_lo
	v_add_co_u32 v4, vcc_lo, v7, v4
	v_pack_b32_f16 v16, v34, v44
	v_pack_b32_f16 v13, v41, v48
	s_wait_alu 0xfffd
	v_add_co_ci_u32_e32 v5, vcc_lo, v8, v5, vcc_lo
	v_pack_b32_f16 v14, v25, v23
	v_add_co_u32 v6, vcc_lo, v7, v11
	v_pack_b32_f16 v15, v20, v19
	s_wait_alu 0xfffd
	v_add_co_ci_u32_e32 v7, vcc_lo, v8, v12, vcc_lo
	v_pack_b32_f16 v8, v46, v31
	s_clause 0x4
	global_store_b32 v[0:1], v16, off
	global_store_b32 v[2:3], v13, off
	;; [unrolled: 1-line block ×5, first 2 shown]
.LBB0_27:
	s_nop 0
	s_sendmsg sendmsg(MSG_DEALLOC_VGPRS)
	s_endpgm
	.section	.rodata,"a",@progbits
	.p2align	6, 0x0
	.amdhsa_kernel fft_rtc_back_len968_factors_2_2_2_11_11_wgs_176_tpt_88_half_ip_CI_sbrr_dirReg
		.amdhsa_group_segment_fixed_size 0
		.amdhsa_private_segment_fixed_size 0
		.amdhsa_kernarg_size 88
		.amdhsa_user_sgpr_count 2
		.amdhsa_user_sgpr_dispatch_ptr 0
		.amdhsa_user_sgpr_queue_ptr 0
		.amdhsa_user_sgpr_kernarg_segment_ptr 1
		.amdhsa_user_sgpr_dispatch_id 0
		.amdhsa_user_sgpr_private_segment_size 0
		.amdhsa_wavefront_size32 1
		.amdhsa_uses_dynamic_stack 0
		.amdhsa_enable_private_segment 0
		.amdhsa_system_sgpr_workgroup_id_x 1
		.amdhsa_system_sgpr_workgroup_id_y 0
		.amdhsa_system_sgpr_workgroup_id_z 0
		.amdhsa_system_sgpr_workgroup_info 0
		.amdhsa_system_vgpr_workitem_id 0
		.amdhsa_next_free_vgpr 141
		.amdhsa_next_free_sgpr 35
		.amdhsa_reserve_vcc 1
		.amdhsa_float_round_mode_32 0
		.amdhsa_float_round_mode_16_64 0
		.amdhsa_float_denorm_mode_32 3
		.amdhsa_float_denorm_mode_16_64 3
		.amdhsa_fp16_overflow 0
		.amdhsa_workgroup_processor_mode 1
		.amdhsa_memory_ordered 1
		.amdhsa_forward_progress 0
		.amdhsa_round_robin_scheduling 0
		.amdhsa_exception_fp_ieee_invalid_op 0
		.amdhsa_exception_fp_denorm_src 0
		.amdhsa_exception_fp_ieee_div_zero 0
		.amdhsa_exception_fp_ieee_overflow 0
		.amdhsa_exception_fp_ieee_underflow 0
		.amdhsa_exception_fp_ieee_inexact 0
		.amdhsa_exception_int_div_zero 0
	.end_amdhsa_kernel
	.text
.Lfunc_end0:
	.size	fft_rtc_back_len968_factors_2_2_2_11_11_wgs_176_tpt_88_half_ip_CI_sbrr_dirReg, .Lfunc_end0-fft_rtc_back_len968_factors_2_2_2_11_11_wgs_176_tpt_88_half_ip_CI_sbrr_dirReg
                                        ; -- End function
	.section	.AMDGPU.csdata,"",@progbits
; Kernel info:
; codeLenInByte = 10260
; NumSgprs: 37
; NumVgprs: 141
; ScratchSize: 0
; MemoryBound: 0
; FloatMode: 240
; IeeeMode: 1
; LDSByteSize: 0 bytes/workgroup (compile time only)
; SGPRBlocks: 4
; VGPRBlocks: 17
; NumSGPRsForWavesPerEU: 37
; NumVGPRsForWavesPerEU: 141
; Occupancy: 10
; WaveLimiterHint : 1
; COMPUTE_PGM_RSRC2:SCRATCH_EN: 0
; COMPUTE_PGM_RSRC2:USER_SGPR: 2
; COMPUTE_PGM_RSRC2:TRAP_HANDLER: 0
; COMPUTE_PGM_RSRC2:TGID_X_EN: 1
; COMPUTE_PGM_RSRC2:TGID_Y_EN: 0
; COMPUTE_PGM_RSRC2:TGID_Z_EN: 0
; COMPUTE_PGM_RSRC2:TIDIG_COMP_CNT: 0
	.text
	.p2alignl 7, 3214868480
	.fill 96, 4, 3214868480
	.type	__hip_cuid_7e204dc9653d0af3,@object ; @__hip_cuid_7e204dc9653d0af3
	.section	.bss,"aw",@nobits
	.globl	__hip_cuid_7e204dc9653d0af3
__hip_cuid_7e204dc9653d0af3:
	.byte	0                               ; 0x0
	.size	__hip_cuid_7e204dc9653d0af3, 1

	.ident	"AMD clang version 19.0.0git (https://github.com/RadeonOpenCompute/llvm-project roc-6.4.0 25133 c7fe45cf4b819c5991fe208aaa96edf142730f1d)"
	.section	".note.GNU-stack","",@progbits
	.addrsig
	.addrsig_sym __hip_cuid_7e204dc9653d0af3
	.amdgpu_metadata
---
amdhsa.kernels:
  - .args:
      - .actual_access:  read_only
        .address_space:  global
        .offset:         0
        .size:           8
        .value_kind:     global_buffer
      - .offset:         8
        .size:           8
        .value_kind:     by_value
      - .actual_access:  read_only
        .address_space:  global
        .offset:         16
        .size:           8
        .value_kind:     global_buffer
      - .actual_access:  read_only
        .address_space:  global
        .offset:         24
        .size:           8
        .value_kind:     global_buffer
      - .offset:         32
        .size:           8
        .value_kind:     by_value
      - .actual_access:  read_only
        .address_space:  global
        .offset:         40
        .size:           8
        .value_kind:     global_buffer
      - .actual_access:  read_only
        .address_space:  global
        .offset:         48
        .size:           8
        .value_kind:     global_buffer
      - .offset:         56
        .size:           4
        .value_kind:     by_value
      - .actual_access:  read_only
        .address_space:  global
        .offset:         64
        .size:           8
        .value_kind:     global_buffer
      - .actual_access:  read_only
        .address_space:  global
        .offset:         72
        .size:           8
        .value_kind:     global_buffer
      - .address_space:  global
        .offset:         80
        .size:           8
        .value_kind:     global_buffer
    .group_segment_fixed_size: 0
    .kernarg_segment_align: 8
    .kernarg_segment_size: 88
    .language:       OpenCL C
    .language_version:
      - 2
      - 0
    .max_flat_workgroup_size: 176
    .name:           fft_rtc_back_len968_factors_2_2_2_11_11_wgs_176_tpt_88_half_ip_CI_sbrr_dirReg
    .private_segment_fixed_size: 0
    .sgpr_count:     37
    .sgpr_spill_count: 0
    .symbol:         fft_rtc_back_len968_factors_2_2_2_11_11_wgs_176_tpt_88_half_ip_CI_sbrr_dirReg.kd
    .uniform_work_group_size: 1
    .uses_dynamic_stack: false
    .vgpr_count:     141
    .vgpr_spill_count: 0
    .wavefront_size: 32
    .workgroup_processor_mode: 1
amdhsa.target:   amdgcn-amd-amdhsa--gfx1201
amdhsa.version:
  - 1
  - 2
...

	.end_amdgpu_metadata
